;; amdgpu-corpus repo=ROCm/rocFFT kind=compiled arch=gfx1030 opt=O3
	.text
	.amdgcn_target "amdgcn-amd-amdhsa--gfx1030"
	.amdhsa_code_object_version 6
	.protected	fft_rtc_fwd_len1664_factors_13_2_2_4_2_2_2_wgs_208_tpt_208_halfLds_half_ip_CI_sbrr_dirReg ; -- Begin function fft_rtc_fwd_len1664_factors_13_2_2_4_2_2_2_wgs_208_tpt_208_halfLds_half_ip_CI_sbrr_dirReg
	.globl	fft_rtc_fwd_len1664_factors_13_2_2_4_2_2_2_wgs_208_tpt_208_halfLds_half_ip_CI_sbrr_dirReg
	.p2align	8
	.type	fft_rtc_fwd_len1664_factors_13_2_2_4_2_2_2_wgs_208_tpt_208_halfLds_half_ip_CI_sbrr_dirReg,@function
fft_rtc_fwd_len1664_factors_13_2_2_4_2_2_2_wgs_208_tpt_208_halfLds_half_ip_CI_sbrr_dirReg: ; @fft_rtc_fwd_len1664_factors_13_2_2_4_2_2_2_wgs_208_tpt_208_halfLds_half_ip_CI_sbrr_dirReg
; %bb.0:
	s_clause 0x2
	s_load_dwordx2 s[14:15], s[4:5], 0x18
	s_load_dwordx4 s[8:11], s[4:5], 0x0
	s_load_dwordx2 s[12:13], s[4:5], 0x50
	v_mul_u32_u24_e32 v1, 0x13c, v0
	v_mov_b32_e32 v3, 0
	v_add_nc_u32_sdwa v5, s6, v1 dst_sel:DWORD dst_unused:UNUSED_PAD src0_sel:DWORD src1_sel:WORD_1
	v_mov_b32_e32 v1, 0
	v_mov_b32_e32 v6, v3
	v_mov_b32_e32 v2, 0
	s_waitcnt lgkmcnt(0)
	s_load_dwordx2 s[2:3], s[14:15], 0x0
	v_cmp_lt_u64_e64 s0, s[10:11], 2
	s_and_b32 vcc_lo, exec_lo, s0
	s_cbranch_vccnz .LBB0_8
; %bb.1:
	s_load_dwordx2 s[0:1], s[4:5], 0x10
	v_mov_b32_e32 v1, 0
	s_add_u32 s6, s14, 8
	v_mov_b32_e32 v2, 0
	s_addc_u32 s7, s15, 0
	s_mov_b64 s[18:19], 1
	s_waitcnt lgkmcnt(0)
	s_add_u32 s16, s0, 8
	s_addc_u32 s17, s1, 0
.LBB0_2:                                ; =>This Inner Loop Header: Depth=1
	s_load_dwordx2 s[20:21], s[16:17], 0x0
                                        ; implicit-def: $vgpr7_vgpr8
	s_mov_b32 s0, exec_lo
	s_waitcnt lgkmcnt(0)
	v_or_b32_e32 v4, s21, v6
	v_cmpx_ne_u64_e32 0, v[3:4]
	s_xor_b32 s1, exec_lo, s0
	s_cbranch_execz .LBB0_4
; %bb.3:                                ;   in Loop: Header=BB0_2 Depth=1
	v_cvt_f32_u32_e32 v4, s20
	v_cvt_f32_u32_e32 v7, s21
	s_sub_u32 s0, 0, s20
	s_subb_u32 s22, 0, s21
	v_fmac_f32_e32 v4, 0x4f800000, v7
	v_rcp_f32_e32 v4, v4
	v_mul_f32_e32 v4, 0x5f7ffffc, v4
	v_mul_f32_e32 v7, 0x2f800000, v4
	v_trunc_f32_e32 v7, v7
	v_fmac_f32_e32 v4, 0xcf800000, v7
	v_cvt_u32_f32_e32 v7, v7
	v_cvt_u32_f32_e32 v4, v4
	v_mul_lo_u32 v8, s0, v7
	v_mul_hi_u32 v9, s0, v4
	v_mul_lo_u32 v10, s22, v4
	v_add_nc_u32_e32 v8, v9, v8
	v_mul_lo_u32 v9, s0, v4
	v_add_nc_u32_e32 v8, v8, v10
	v_mul_hi_u32 v10, v4, v9
	v_mul_lo_u32 v11, v4, v8
	v_mul_hi_u32 v12, v4, v8
	v_mul_hi_u32 v13, v7, v9
	v_mul_lo_u32 v9, v7, v9
	v_mul_hi_u32 v14, v7, v8
	v_mul_lo_u32 v8, v7, v8
	v_add_co_u32 v10, vcc_lo, v10, v11
	v_add_co_ci_u32_e32 v11, vcc_lo, 0, v12, vcc_lo
	v_add_co_u32 v9, vcc_lo, v10, v9
	v_add_co_ci_u32_e32 v9, vcc_lo, v11, v13, vcc_lo
	v_add_co_ci_u32_e32 v10, vcc_lo, 0, v14, vcc_lo
	v_add_co_u32 v8, vcc_lo, v9, v8
	v_add_co_ci_u32_e32 v9, vcc_lo, 0, v10, vcc_lo
	v_add_co_u32 v4, vcc_lo, v4, v8
	v_add_co_ci_u32_e32 v7, vcc_lo, v7, v9, vcc_lo
	v_mul_hi_u32 v8, s0, v4
	v_mul_lo_u32 v10, s22, v4
	v_mul_lo_u32 v9, s0, v7
	v_add_nc_u32_e32 v8, v8, v9
	v_mul_lo_u32 v9, s0, v4
	v_add_nc_u32_e32 v8, v8, v10
	v_mul_hi_u32 v10, v4, v9
	v_mul_lo_u32 v11, v4, v8
	v_mul_hi_u32 v12, v4, v8
	v_mul_hi_u32 v13, v7, v9
	v_mul_lo_u32 v9, v7, v9
	v_mul_hi_u32 v14, v7, v8
	v_mul_lo_u32 v8, v7, v8
	v_add_co_u32 v10, vcc_lo, v10, v11
	v_add_co_ci_u32_e32 v11, vcc_lo, 0, v12, vcc_lo
	v_add_co_u32 v9, vcc_lo, v10, v9
	v_add_co_ci_u32_e32 v9, vcc_lo, v11, v13, vcc_lo
	v_add_co_ci_u32_e32 v10, vcc_lo, 0, v14, vcc_lo
	v_add_co_u32 v8, vcc_lo, v9, v8
	v_add_co_ci_u32_e32 v9, vcc_lo, 0, v10, vcc_lo
	v_add_co_u32 v4, vcc_lo, v4, v8
	v_add_co_ci_u32_e32 v11, vcc_lo, v7, v9, vcc_lo
	v_mul_hi_u32 v13, v5, v4
	v_mad_u64_u32 v[9:10], null, v6, v4, 0
	v_mad_u64_u32 v[7:8], null, v5, v11, 0
	;; [unrolled: 1-line block ×3, first 2 shown]
	v_add_co_u32 v4, vcc_lo, v13, v7
	v_add_co_ci_u32_e32 v7, vcc_lo, 0, v8, vcc_lo
	v_add_co_u32 v4, vcc_lo, v4, v9
	v_add_co_ci_u32_e32 v4, vcc_lo, v7, v10, vcc_lo
	v_add_co_ci_u32_e32 v7, vcc_lo, 0, v12, vcc_lo
	v_add_co_u32 v4, vcc_lo, v4, v11
	v_add_co_ci_u32_e32 v9, vcc_lo, 0, v7, vcc_lo
	v_mul_lo_u32 v10, s21, v4
	v_mad_u64_u32 v[7:8], null, s20, v4, 0
	v_mul_lo_u32 v11, s20, v9
	v_sub_co_u32 v7, vcc_lo, v5, v7
	v_add3_u32 v8, v8, v11, v10
	v_sub_nc_u32_e32 v10, v6, v8
	v_subrev_co_ci_u32_e64 v10, s0, s21, v10, vcc_lo
	v_add_co_u32 v11, s0, v4, 2
	v_add_co_ci_u32_e64 v12, s0, 0, v9, s0
	v_sub_co_u32 v13, s0, v7, s20
	v_sub_co_ci_u32_e32 v8, vcc_lo, v6, v8, vcc_lo
	v_subrev_co_ci_u32_e64 v10, s0, 0, v10, s0
	v_cmp_le_u32_e32 vcc_lo, s20, v13
	v_cmp_eq_u32_e64 s0, s21, v8
	v_cndmask_b32_e64 v13, 0, -1, vcc_lo
	v_cmp_le_u32_e32 vcc_lo, s21, v10
	v_cndmask_b32_e64 v14, 0, -1, vcc_lo
	v_cmp_le_u32_e32 vcc_lo, s20, v7
	;; [unrolled: 2-line block ×3, first 2 shown]
	v_cndmask_b32_e64 v15, 0, -1, vcc_lo
	v_cmp_eq_u32_e32 vcc_lo, s21, v10
	v_cndmask_b32_e64 v7, v15, v7, s0
	v_cndmask_b32_e32 v10, v14, v13, vcc_lo
	v_add_co_u32 v13, vcc_lo, v4, 1
	v_add_co_ci_u32_e32 v14, vcc_lo, 0, v9, vcc_lo
	v_cmp_ne_u32_e32 vcc_lo, 0, v10
	v_cndmask_b32_e32 v8, v14, v12, vcc_lo
	v_cndmask_b32_e32 v10, v13, v11, vcc_lo
	v_cmp_ne_u32_e32 vcc_lo, 0, v7
	v_cndmask_b32_e32 v8, v9, v8, vcc_lo
	v_cndmask_b32_e32 v7, v4, v10, vcc_lo
.LBB0_4:                                ;   in Loop: Header=BB0_2 Depth=1
	s_andn2_saveexec_b32 s0, s1
	s_cbranch_execz .LBB0_6
; %bb.5:                                ;   in Loop: Header=BB0_2 Depth=1
	v_cvt_f32_u32_e32 v4, s20
	s_sub_i32 s1, 0, s20
	v_rcp_iflag_f32_e32 v4, v4
	v_mul_f32_e32 v4, 0x4f7ffffe, v4
	v_cvt_u32_f32_e32 v4, v4
	v_mul_lo_u32 v7, s1, v4
	v_mul_hi_u32 v7, v4, v7
	v_add_nc_u32_e32 v4, v4, v7
	v_mul_hi_u32 v4, v5, v4
	v_mul_lo_u32 v7, v4, s20
	v_add_nc_u32_e32 v8, 1, v4
	v_sub_nc_u32_e32 v7, v5, v7
	v_subrev_nc_u32_e32 v9, s20, v7
	v_cmp_le_u32_e32 vcc_lo, s20, v7
	v_cndmask_b32_e32 v7, v7, v9, vcc_lo
	v_cndmask_b32_e32 v4, v4, v8, vcc_lo
	v_cmp_le_u32_e32 vcc_lo, s20, v7
	v_add_nc_u32_e32 v8, 1, v4
	v_cndmask_b32_e32 v7, v4, v8, vcc_lo
	v_mov_b32_e32 v8, v3
.LBB0_6:                                ;   in Loop: Header=BB0_2 Depth=1
	s_or_b32 exec_lo, exec_lo, s0
	s_load_dwordx2 s[0:1], s[6:7], 0x0
	v_mul_lo_u32 v4, v8, s20
	v_mul_lo_u32 v11, v7, s21
	v_mad_u64_u32 v[9:10], null, v7, s20, 0
	s_add_u32 s18, s18, 1
	s_addc_u32 s19, s19, 0
	s_add_u32 s6, s6, 8
	s_addc_u32 s7, s7, 0
	;; [unrolled: 2-line block ×3, first 2 shown]
	v_add3_u32 v4, v10, v11, v4
	v_sub_co_u32 v5, vcc_lo, v5, v9
	v_sub_co_ci_u32_e32 v4, vcc_lo, v6, v4, vcc_lo
	s_waitcnt lgkmcnt(0)
	v_mul_lo_u32 v6, s1, v5
	v_mul_lo_u32 v4, s0, v4
	v_mad_u64_u32 v[1:2], null, s0, v5, v[1:2]
	v_cmp_ge_u64_e64 s0, s[18:19], s[10:11]
	s_and_b32 vcc_lo, exec_lo, s0
	v_add3_u32 v2, v6, v2, v4
	s_cbranch_vccnz .LBB0_9
; %bb.7:                                ;   in Loop: Header=BB0_2 Depth=1
	v_mov_b32_e32 v5, v7
	v_mov_b32_e32 v6, v8
	s_branch .LBB0_2
.LBB0_8:
	v_mov_b32_e32 v8, v6
	v_mov_b32_e32 v7, v5
.LBB0_9:
	s_lshl_b64 s[0:1], s[10:11], 3
	v_mul_hi_u32 v4, 0x13b13b2, v0
	s_add_u32 s0, s14, s0
	s_addc_u32 s1, s15, s1
                                        ; implicit-def: $vgpr31
                                        ; implicit-def: $vgpr18
                                        ; implicit-def: $vgpr30
                                        ; implicit-def: $vgpr19
                                        ; implicit-def: $vgpr29
                                        ; implicit-def: $vgpr20
                                        ; implicit-def: $vgpr28
                                        ; implicit-def: $vgpr21
                                        ; implicit-def: $vgpr27
                                        ; implicit-def: $vgpr22
                                        ; implicit-def: $vgpr24
                                        ; implicit-def: $vgpr23
                                        ; implicit-def: $vgpr10
                                        ; implicit-def: $vgpr26
                                        ; implicit-def: $vgpr36
                                        ; implicit-def: $vgpr35
                                        ; implicit-def: $vgpr9
                                        ; implicit-def: $vgpr34
                                        ; implicit-def: $vgpr11
                                        ; implicit-def: $vgpr33
                                        ; implicit-def: $vgpr25
                                        ; implicit-def: $vgpr32
	s_load_dwordx2 s[0:1], s[0:1], 0x0
	s_load_dwordx2 s[4:5], s[4:5], 0x20
	s_waitcnt lgkmcnt(0)
	v_mul_lo_u32 v5, s0, v8
	v_mul_lo_u32 v6, s1, v7
	v_mad_u64_u32 v[2:3], null, s0, v7, v[1:2]
	v_mul_u32_u24_e32 v1, 0xd0, v4
	v_cmp_gt_u64_e32 vcc_lo, s[4:5], v[7:8]
                                        ; implicit-def: $vgpr4
	v_sub_nc_u32_e32 v0, v0, v1
	v_add3_u32 v3, v6, v3, v5
	v_mov_b32_e32 v1, 0
	v_mov_b32_e32 v6, 0
                                        ; implicit-def: $vgpr5
	v_cmp_gt_u32_e64 s0, 0x80, v0
	v_lshlrev_b64 v[2:3], 2, v[2:3]
	s_and_b32 s1, vcc_lo, s0
	s_and_saveexec_b32 s4, s1
	s_cbranch_execz .LBB0_11
; %bb.10:
	v_mad_u64_u32 v[4:5], null, s2, v0, 0
	v_or_b32_e32 v11, 0x80, v0
	v_or_b32_e32 v13, 0x100, v0
	v_or_b32_e32 v18, 0x200, v0
	v_add_co_u32 v38, s1, s12, v2
	v_mad_u64_u32 v[6:7], null, s2, v11, 0
	v_mov_b32_e32 v1, v5
	v_add_co_ci_u32_e64 v39, s1, s13, v3, s1
	v_or_b32_e32 v26, 0x380, v0
	v_or_b32_e32 v34, 0x500, v0
	v_mad_u64_u32 v[8:9], null, s3, v0, v[1:2]
	v_mov_b32_e32 v1, v7
	v_mad_u64_u32 v[9:10], null, s2, v13, 0
	v_mad_u64_u32 v[21:22], null, s2, v26, 0
	;; [unrolled: 1-line block ×3, first 2 shown]
	v_mov_b32_e32 v5, v8
	v_or_b32_e32 v8, 0x180, v0
	v_mov_b32_e32 v1, v10
	v_mad_u64_u32 v[28:29], null, s2, v34, 0
	v_lshlrev_b64 v[4:5], 2, v[4:5]
	v_mov_b32_e32 v7, v11
	v_mad_u64_u32 v[11:12], null, s2, v8, 0
	v_mad_u64_u32 v[13:14], null, s3, v13, v[1:2]
	;; [unrolled: 1-line block ×3, first 2 shown]
	v_lshlrev_b64 v[6:7], 2, v[6:7]
	v_add_co_u32 v4, s1, v38, v4
	v_mov_b32_e32 v1, v12
	v_mov_b32_e32 v10, v13
	v_add_co_ci_u32_e64 v5, s1, v39, v5, s1
	v_add_co_u32 v16, s1, v38, v6
	v_mad_u64_u32 v[12:13], null, s3, v8, v[1:2]
	v_mov_b32_e32 v1, v15
	v_or_b32_e32 v13, 0x280, v0
	v_add_co_ci_u32_e64 v17, s1, v39, v7, s1
	v_lshlrev_b64 v[6:7], 2, v[9:10]
	v_mad_u64_u32 v[8:9], null, s3, v18, v[1:2]
	v_mad_u64_u32 v[9:10], null, s2, v13, 0
	v_or_b32_e32 v18, 0x300, v0
	v_add_co_u32 v19, s1, v38, v6
	v_add_co_ci_u32_e64 v20, s1, v39, v7, s1
	v_lshlrev_b64 v[6:7], 2, v[11:12]
	v_mov_b32_e32 v1, v10
	v_mad_u64_u32 v[11:12], null, s2, v18, 0
	v_mov_b32_e32 v15, v8
	v_mov_b32_e32 v8, v22
	v_mad_u64_u32 v[23:24], null, s3, v13, v[1:2]
	v_add_co_u32 v24, s1, v38, v6
	v_mov_b32_e32 v1, v12
	v_add_co_ci_u32_e64 v25, s1, v39, v7, s1
	v_lshlrev_b64 v[6:7], 2, v[14:15]
	v_mov_b32_e32 v10, v23
	v_mad_u64_u32 v[12:13], null, s3, v18, v[1:2]
	v_mad_u64_u32 v[13:14], null, s3, v26, v[8:9]
	v_add_co_u32 v14, s1, v38, v6
	v_or_b32_e32 v18, 0x400, v0
	v_add_co_ci_u32_e64 v15, s1, v39, v7, s1
	v_lshlrev_b64 v[6:7], 2, v[9:10]
	v_or_b32_e32 v23, 0x480, v0
	v_mad_u64_u32 v[8:9], null, s2, v18, 0
	v_mov_b32_e32 v22, v13
	v_or_b32_e32 v40, 0x600, v0
	v_add_co_u32 v26, s1, v38, v6
	v_add_co_ci_u32_e64 v27, s1, v39, v7, s1
	v_lshlrev_b64 v[6:7], 2, v[11:12]
	v_mad_u64_u32 v[12:13], null, s2, v23, 0
	v_mov_b32_e32 v1, v9
	v_lshlrev_b64 v[10:11], 2, v[21:22]
	v_mad_u64_u32 v[36:37], null, s2, v40, 0
	v_add_co_u32 v30, s1, v38, v6
	v_mad_u64_u32 v[21:22], null, s3, v18, v[1:2]
	v_mov_b32_e32 v1, v13
	v_add_co_ci_u32_e64 v31, s1, v39, v7, s1
	v_mov_b32_e32 v6, v29
	v_or_b32_e32 v7, 0x580, v0
	v_mad_u64_u32 v[32:33], null, s3, v23, v[1:2]
	v_mov_b32_e32 v9, v21
	v_add_co_u32 v10, s1, v38, v10
	v_mad_u64_u32 v[33:34], null, s3, v34, v[6:7]
	v_mad_u64_u32 v[34:35], null, s2, v7, 0
	v_add_co_ci_u32_e64 v11, s1, v39, v11, s1
	s_clause 0x7
	global_load_dword v6, v[4:5], off
	global_load_dword v18, v[16:17], off
	;; [unrolled: 1-line block ×8, first 2 shown]
	v_lshlrev_b64 v[4:5], 2, v[8:9]
	v_mov_b32_e32 v13, v32
	v_mov_b32_e32 v29, v33
	v_mov_b32_e32 v1, v35
	v_add_co_u32 v4, s1, v38, v4
	v_mad_u64_u32 v[7:8], null, s3, v7, v[1:2]
	v_mov_b32_e32 v1, v37
	v_lshlrev_b64 v[8:9], 2, v[12:13]
	v_add_co_ci_u32_e64 v5, s1, v39, v5, s1
	v_mad_u64_u32 v[10:11], null, s3, v40, v[1:2]
	v_lshlrev_b64 v[11:12], 2, v[28:29]
	v_mov_b32_e32 v35, v7
	v_add_co_u32 v7, s1, v38, v8
	v_add_co_ci_u32_e64 v8, s1, v39, v9, s1
	v_mov_b32_e32 v37, v10
	v_lshlrev_b64 v[13:14], 2, v[34:35]
	v_add_co_u32 v9, s1, v38, v11
	v_add_co_ci_u32_e64 v10, s1, v39, v12, s1
	v_lshlrev_b64 v[11:12], 2, v[36:37]
	v_add_co_u32 v13, s1, v38, v13
	v_add_co_ci_u32_e64 v14, s1, v39, v14, s1
	v_add_co_u32 v11, s1, v38, v11
	v_add_co_ci_u32_e64 v12, s1, v39, v12, s1
	s_clause 0x4
	global_load_dword v32, v[4:5], off
	global_load_dword v33, v[7:8], off
	;; [unrolled: 1-line block ×5, first 2 shown]
	s_waitcnt vmcnt(12)
	v_lshrrev_b32_e32 v1, 16, v6
	s_waitcnt vmcnt(11)
	v_lshrrev_b32_e32 v31, 16, v18
	;; [unrolled: 2-line block ×13, first 2 shown]
.LBB0_11:
	s_or_b32 exec_lo, exec_lo, s4
	s_and_saveexec_b32 s1, s0
	s_cbranch_execz .LBB0_13
; %bb.12:
	v_add_f16_e32 v7, v6, v18
	v_add_f16_e32 v8, v18, v36
	v_sub_f16_e32 v13, v31, v4
	v_add_f16_e32 v12, v19, v35
	v_sub_f16_e32 v14, v30, v5
	v_add_f16_e32 v7, v7, v19
	v_pk_mul_f16 v42, 0x388b3b15, v8 op_sel_hi:[1,0]
	v_add_f16_e32 v15, v20, v34
	v_pk_mul_f16 v43, 0xb5ac388b, v12 op_sel_hi:[1,0]
	v_sub_f16_e32 v16, v29, v9
	v_add_f16_e32 v7, v7, v20
	v_pk_fma_f16 v53, 0xba95b770, v13, v42 op_sel_hi:[1,0,1] neg_lo:[0,1,0] neg_hi:[0,1,0]
	v_add_f16_e32 v17, v21, v33
	v_pk_mul_f16 v44, 0xbbc42fb7, v15 op_sel_hi:[1,0]
	v_pk_mul_f16 v49, 0xb9fdbbc4, v12 op_sel_hi:[1,0]
	v_add_f16_e32 v7, v7, v21
	v_pk_mul_f16 v54, 0x3b152fb7, v12 op_sel_hi:[1,0]
	v_pk_fma_f16 v12, 0xbb7bba95, v14, v43 op_sel_hi:[1,0,1] neg_lo:[0,1,0] neg_hi:[0,1,0]
	v_pk_add_f16 v53, v6, v53 op_sel_hi:[0,1]
	v_pk_mul_f16 v48, 0xb5ac2fb7, v8 op_sel_hi:[1,0]
	v_add_f16_e32 v7, v7, v22
	v_sub_f16_e32 v37, v28, v11
	v_pk_mul_f16 v45, 0xb9fdb5ac, v17 op_sel_hi:[1,0]
	v_pk_mul_f16 v8, 0xbbc4b9fd, v8 op_sel_hi:[1,0]
	v_pk_fma_f16 v55, 0xb3a8bbf1, v16, v44 op_sel_hi:[1,0,1] neg_lo:[0,1,0] neg_hi:[0,1,0]
	v_add_f16_e32 v7, v7, v23
	v_pk_add_f16 v12, v53, v12
	v_add_f16_e32 v38, v22, v32
	v_pk_fma_f16 v53, 0xbb7bbbf1, v13, v48 op_sel_hi:[1,0,1] neg_lo:[0,1,0] neg_hi:[0,1,0]
	v_pk_fma_f16 v56, 0x394ebb7b, v37, v45 op_sel_hi:[1,0,1] neg_lo:[0,1,0] neg_hi:[0,1,0]
	v_add_f16_e32 v7, v7, v26
	v_pk_add_f16 v12, v12, v55
	v_pk_fma_f16 v59, 0xb3a8b94e, v13, v8 op_sel_hi:[1,0,1] neg_lo:[0,1,0] neg_hi:[0,1,0]
	v_pk_fma_f16 v8, 0xb3a8b94e, v13, v8 op_sel_hi:[1,0,1]
	v_sub_f16_e32 v39, v27, v25
	v_add_f16_e32 v7, v7, v32
	v_pk_mul_f16 v46, 0x2fb7b9fd, v38 op_sel_hi:[1,0]
	v_pk_mul_f16 v50, 0x3b15b5ac, v15 op_sel_hi:[1,0]
	v_pk_fma_f16 v58, 0x394eb3a8, v14, v49 op_sel_hi:[1,0,1] neg_lo:[0,1,0] neg_hi:[0,1,0]
	v_pk_add_f16 v53, v6, v53 op_sel_hi:[0,1]
	v_add_f16_e32 v7, v33, v7
	v_pk_fma_f16 v48, 0xbb7bbbf1, v13, v48 op_sel_hi:[1,0,1]
	v_pk_fma_f16 v13, 0xba95b770, v13, v42 op_sel_hi:[1,0,1]
	v_pk_mul_f16 v15, 0xb9fd388b, v15 op_sel_hi:[1,0]
	v_pk_add_f16 v12, v12, v56
	v_add_f16_e32 v7, v34, v7
	v_pk_fma_f16 v56, 0x37703bf1, v14, v54 op_sel_hi:[1,0,1] neg_lo:[0,1,0] neg_hi:[0,1,0]
	v_pk_add_f16 v8, v6, v8 op_sel_hi:[0,1]
	v_pk_fma_f16 v54, 0x37703bf1, v14, v54 op_sel_hi:[1,0,1]
	v_pk_fma_f16 v57, 0x3bf1b94e, v39, v46 op_sel_hi:[1,0,1] neg_lo:[0,1,0] neg_hi:[0,1,0]
	v_pk_fma_f16 v55, 0x37703b7b, v16, v50 op_sel_hi:[1,0,1] neg_lo:[0,1,0] neg_hi:[0,1,0]
	v_add_f16_e32 v7, v35, v7
	v_pk_add_f16 v53, v53, v58
	v_pk_add_f16 v58, v6, v59 op_sel_hi:[0,1]
	v_pk_add_f16 v48, v6, v48 op_sel_hi:[0,1]
	v_pk_fma_f16 v49, 0x394eb3a8, v14, v49 op_sel_hi:[1,0,1]
	v_pk_add_f16 v6, v6, v13 op_sel_hi:[0,1]
	v_pk_fma_f16 v13, 0xbb7bba95, v14, v43 op_sel_hi:[1,0,1]
	v_pk_mul_f16 v51, 0x2fb73b15, v17 op_sel_hi:[1,0]
	v_pk_mul_f16 v17, 0x388bbbc4, v17 op_sel_hi:[1,0]
	v_pk_add_f16 v8, v8, v54
	v_pk_fma_f16 v14, 0xb94eba95, v16, v15 op_sel_hi:[1,0,1]
	v_pk_add_f16 v12, v12, v57
	v_add_f16_e32 v57, v36, v7
	v_pk_add_f16 v7, v53, v55
	v_pk_add_f16 v55, v58, v56
	v_pk_fma_f16 v56, 0xb94eba95, v16, v15 op_sel_hi:[1,0,1] neg_lo:[0,1,0] neg_hi:[0,1,0]
	v_pk_add_f16 v15, v48, v49
	v_pk_fma_f16 v43, 0x37703b7b, v16, v50 op_sel_hi:[1,0,1]
	v_pk_add_f16 v6, v6, v13
	v_pk_fma_f16 v13, 0xb3a8bbf1, v16, v44 op_sel_hi:[1,0,1]
	v_add_f16_e32 v40, v23, v26
	v_pk_mul_f16 v52, 0xbbc4388b, v38 op_sel_hi:[1,0]
	v_pk_fma_f16 v53, 0xbbf13770, v37, v51 op_sel_hi:[1,0,1] neg_lo:[0,1,0] neg_hi:[0,1,0]
	v_pk_mul_f16 v38, 0xb5ac3b15, v38 op_sel_hi:[1,0]
	v_pk_add_f16 v8, v8, v14
	v_pk_fma_f16 v14, 0x3a9533a8, v37, v17 op_sel_hi:[1,0,1]
	v_pk_add_f16 v15, v15, v43
	v_pk_fma_f16 v16, 0xbbf13770, v37, v51 op_sel_hi:[1,0,1]
	;; [unrolled: 2-line block ×3, first 2 shown]
	v_sub_f16_e32 v41, v24, v10
	v_pk_mul_f16 v47, 0x3b15bbc4, v40 op_sel_hi:[1,0]
	v_pk_add_f16 v7, v7, v53
	v_pk_fma_f16 v53, 0x33a8ba95, v39, v52 op_sel_hi:[1,0,1] neg_lo:[0,1,0] neg_hi:[0,1,0]
	v_pk_add_f16 v55, v55, v56
	v_pk_fma_f16 v56, 0x3a9533a8, v37, v17 op_sel_hi:[1,0,1] neg_lo:[0,1,0] neg_hi:[0,1,0]
	v_pk_mul_f16 v59, 0x388bb9fd, v40 op_sel_hi:[1,0]
	v_pk_mul_f16 v40, 0x2fb7b5ac, v40 op_sel_hi:[1,0]
	v_pk_add_f16 v8, v8, v14
	v_pk_fma_f16 v14, 0xbb7b3770, v39, v38 op_sel_hi:[1,0,1]
	v_pk_add_f16 v15, v15, v16
	v_pk_fma_f16 v16, 0x33a8ba95, v39, v52 op_sel_hi:[1,0,1]
	v_pk_add_f16 v6, v6, v13
	v_pk_fma_f16 v13, 0x3bf1b94e, v39, v46 op_sel_hi:[1,0,1]
	v_pk_add_f16 v7, v7, v53
	v_pk_add_f16 v53, v55, v56
	v_pk_fma_f16 v42, 0xbb7b3770, v39, v38 op_sel_hi:[1,0,1] neg_lo:[0,1,0] neg_hi:[0,1,0]
	v_pk_add_f16 v8, v8, v14
	v_pk_fma_f16 v14, 0x3bf1bb7b, v41, v40 op_sel_hi:[1,0,1]
	v_pk_add_f16 v15, v15, v16
	v_pk_fma_f16 v16, 0x3a95b94e, v41, v59 op_sel_hi:[1,0,1]
	;; [unrolled: 2-line block ×3, first 2 shown]
	v_pk_fma_f16 v58, 0x3770b3a8, v41, v47 op_sel_hi:[1,0,1] neg_lo:[0,1,0] neg_hi:[0,1,0]
	v_pk_fma_f16 v55, 0x3a95b94e, v41, v59 op_sel_hi:[1,0,1] neg_lo:[0,1,0] neg_hi:[0,1,0]
	v_pk_add_f16 v17, v53, v42
	v_pk_fma_f16 v37, 0x3bf1bb7b, v41, v40 op_sel_hi:[1,0,1] neg_lo:[0,1,0] neg_hi:[0,1,0]
	v_pk_add_f16 v8, v14, v8
	v_pk_add_f16 v16, v16, v15
	v_pk_add_f16 v38, v13, v6
	v_mad_u32_u24 v60, v0, 26, 0
	v_pk_add_f16 v12, v58, v12
	v_pk_add_f16 v13, v55, v7
	;; [unrolled: 1-line block ×3, first 2 shown]
	v_alignbit_b32 v15, v8, v8, 16
	v_alignbit_b32 v6, v16, v16, 16
	;; [unrolled: 1-line block ×3, first 2 shown]
	ds_write_b16 v60, v57
	ds_write_b128 v60, v[12:15] offset:2
	ds_write_b64 v60, v[6:7] offset:18
.LBB0_13:
	s_or_b32 exec_lo, exec_lo, s1
	v_lshl_add_u32 v8, v0, 1, 0
	s_waitcnt lgkmcnt(0)
	s_barrier
	buffer_gl0_inv
	ds_read_u16 v6, v8
	ds_read_u16 v7, v8 offset:416
	ds_read_u16 v12, v8 offset:832
	;; [unrolled: 1-line block ×7, first 2 shown]
	s_waitcnt lgkmcnt(0)
	s_barrier
	buffer_gl0_inv
	s_and_saveexec_b32 s1, s0
	s_cbranch_execz .LBB0_15
; %bb.14:
	v_add_f16_e32 v37, v1, v31
	v_sub_f16_e32 v36, v18, v36
	v_add_f16_e32 v31, v31, v4
	v_sub_f16_e32 v19, v19, v35
	v_sub_f16_e32 v23, v23, v26
	v_add_f16_e32 v18, v37, v30
	v_pk_mul_f16 v26, 0xba95b770, v36 op_sel_hi:[1,0]
	v_add_f16_e32 v38, v30, v5
	v_sub_f16_e32 v20, v20, v34
	v_add_f16_e32 v34, v28, v11
	v_add_f16_e32 v18, v18, v29
	v_sub_f16_e32 v21, v21, v33
	v_sub_f16_e32 v22, v22, v32
	v_add_f16_e32 v32, v24, v10
	v_pk_fma_f16 v42, 0x388b3b15, v31, v26 op_sel_hi:[1,0,1]
	v_add_f16_e32 v18, v18, v28
	v_pk_mul_f16 v28, 0xbb7bba95, v19 op_sel_hi:[1,0]
	v_add_f16_e32 v30, v29, v9
	v_add_f16_e32 v29, v27, v25
	v_pk_mul_f16 v33, 0xb3a8bbf1, v20 op_sel_hi:[1,0]
	v_add_f16_e32 v18, v18, v27
	v_pk_mul_f16 v35, 0x394ebb7b, v21 op_sel_hi:[1,0]
	v_pk_mul_f16 v39, 0xbb7bbbf1, v36 op_sel_hi:[1,0]
	v_pk_fma_f16 v43, 0xb5ac388b, v38, v28 op_sel_hi:[1,0,1]
	v_pk_add_f16 v42, v1, v42 op_sel_hi:[0,1]
	v_add_f16_e32 v18, v18, v24
	v_pk_mul_f16 v40, 0x394eb3a8, v19 op_sel_hi:[1,0]
	v_pk_fma_f16 v44, 0xb9fdb5ac, v34, v35 op_sel_hi:[1,0,1]
	v_pk_mul_f16 v27, 0x3bf1b94e, v22 op_sel_hi:[1,0]
	v_pk_mul_f16 v24, 0x37703b7b, v20 op_sel_hi:[1,0]
	v_add_f16_e32 v10, v18, v10
	v_pk_fma_f16 v18, 0xbbc42fb7, v30, v33 op_sel_hi:[1,0,1]
	v_pk_mul_f16 v37, 0x3770b3a8, v23 op_sel_hi:[1,0]
	v_pk_mul_f16 v41, 0xbbf13770, v21 op_sel_hi:[1,0]
	v_pk_fma_f16 v45, 0x2fb7b9fd, v29, v27 op_sel_hi:[1,0,1]
	v_add_f16_e32 v10, v10, v25
	v_pk_fma_f16 v25, 0x388b3b15, v31, v26 op_sel_hi:[1,0,1] neg_lo:[0,0,1] neg_hi:[0,0,1]
	v_pk_fma_f16 v26, 0xb5ac388b, v38, v28 op_sel_hi:[1,0,1] neg_lo:[0,0,1] neg_hi:[0,0,1]
	;; [unrolled: 1-line block ×3, first 2 shown]
	v_pk_add_f16 v33, v42, v43
	v_add_f16_e32 v10, v11, v10
	v_pk_fma_f16 v11, 0xb9fdb5ac, v34, v35 op_sel_hi:[1,0,1] neg_lo:[0,0,1] neg_hi:[0,0,1]
	v_pk_add_f16 v25, v1, v25 op_sel_hi:[0,1]
	v_pk_fma_f16 v35, 0xb5ac2fb7, v31, v39 op_sel_hi:[1,0,1]
	v_pk_add_f16 v18, v33, v18
	v_add_f16_e32 v9, v9, v10
	v_pk_fma_f16 v10, 0xb9fdbbc4, v38, v40 op_sel_hi:[1,0,1]
	v_pk_add_f16 v25, v25, v26
	v_pk_add_f16 v26, v1, v35 op_sel_hi:[0,1]
	v_pk_add_f16 v18, v18, v44
	v_add_f16_e32 v5, v5, v9
	v_pk_fma_f16 v9, 0x3b15b5ac, v30, v24 op_sel_hi:[1,0,1]
	v_pk_add_f16 v25, v25, v28
	v_pk_add_f16 v10, v26, v10
	v_pk_add_f16 v18, v18, v45
	v_add_f16_e32 v26, v4, v5
	v_pk_fma_f16 v4, 0x3b15bbc4, v32, v37 op_sel_hi:[1,0,1]
	v_pk_add_f16 v5, v25, v11
	v_pk_fma_f16 v11, 0x2fb7b9fd, v29, v27 op_sel_hi:[1,0,1] neg_lo:[0,0,1] neg_hi:[0,0,1]
	v_pk_add_f16 v9, v10, v9
	v_pk_fma_f16 v10, 0x2fb73b15, v34, v41 op_sel_hi:[1,0,1]
	v_pk_fma_f16 v27, 0xb5ac2fb7, v31, v39 op_sel_hi:[1,0,1] neg_lo:[0,0,1] neg_hi:[0,0,1]
	v_pk_add_f16 v18, v4, v18
	v_pk_add_f16 v4, v5, v11
	v_pk_fma_f16 v11, 0xb9fdbbc4, v38, v40 op_sel_hi:[1,0,1] neg_lo:[0,0,1] neg_hi:[0,0,1]
	v_pk_add_f16 v5, v9, v10
	v_pk_add_f16 v10, v1, v27 op_sel_hi:[0,1]
	v_pk_mul_f16 v28, 0xb3a8b94e, v36 op_sel_hi:[1,0]
	v_pk_mul_f16 v19, 0x37703bf1, v19 op_sel_hi:[1,0]
	;; [unrolled: 1-line block ×4, first 2 shown]
	v_pk_add_f16 v10, v10, v11
	v_pk_fma_f16 v11, 0x3b15b5ac, v30, v24 op_sel_hi:[1,0,1] neg_lo:[0,0,1] neg_hi:[0,0,1]
	v_pk_fma_f16 v24, 0xbbc4b9fd, v31, v28 op_sel_hi:[1,0,1] neg_lo:[0,0,1] neg_hi:[0,0,1]
	v_pk_fma_f16 v28, 0xbbc4b9fd, v31, v28 op_sel_hi:[1,0,1]
	v_pk_mul_f16 v21, 0x3a9533a8, v21 op_sel_hi:[1,0]
	v_pk_fma_f16 v9, 0xbbc4388b, v29, v25 op_sel_hi:[1,0,1]
	v_pk_add_f16 v10, v10, v11
	v_pk_add_f16 v11, v1, v24 op_sel_hi:[0,1]
	v_pk_fma_f16 v24, 0x3b152fb7, v38, v19 op_sel_hi:[1,0,1] neg_lo:[0,0,1] neg_hi:[0,0,1]
	v_pk_add_f16 v1, v1, v28 op_sel_hi:[0,1]
	v_pk_fma_f16 v19, 0x3b152fb7, v38, v19 op_sel_hi:[1,0,1]
	v_pk_mul_f16 v22, 0xbb7b3770, v22 op_sel_hi:[1,0]
	v_pk_fma_f16 v28, 0x2fb73b15, v34, v41 op_sel_hi:[1,0,1] neg_lo:[0,0,1] neg_hi:[0,0,1]
	v_pk_add_f16 v11, v11, v24
	v_pk_fma_f16 v24, 0xb9fd388b, v30, v20 op_sel_hi:[1,0,1] neg_lo:[0,0,1] neg_hi:[0,0,1]
	v_pk_add_f16 v1, v1, v19
	v_pk_fma_f16 v19, 0xb9fd388b, v30, v20 op_sel_hi:[1,0,1]
	v_pk_fma_f16 v20, 0x388bbbc4, v34, v21 op_sel_hi:[1,0,1] neg_lo:[0,0,1] neg_hi:[0,0,1]
	v_pk_add_f16 v5, v5, v9
	v_pk_add_f16 v11, v11, v24
	v_pk_mul_f16 v9, 0x3a95b94e, v23 op_sel_hi:[1,0]
	v_pk_add_f16 v1, v1, v19
	v_pk_fma_f16 v19, 0x388bbbc4, v34, v21 op_sel_hi:[1,0,1]
	v_pk_mul_f16 v23, 0x3bf1bb7b, v23 op_sel_hi:[1,0]
	v_pk_add_f16 v11, v11, v20
	v_pk_fma_f16 v20, 0xb5ac3b15, v29, v22 op_sel_hi:[1,0,1] neg_lo:[0,0,1] neg_hi:[0,0,1]
	v_pk_add_f16 v10, v10, v28
	v_pk_fma_f16 v21, 0xbbc4388b, v29, v25 op_sel_hi:[1,0,1] neg_lo:[0,0,1] neg_hi:[0,0,1]
	v_pk_add_f16 v1, v1, v19
	v_pk_fma_f16 v19, 0xb5ac3b15, v29, v22 op_sel_hi:[1,0,1]
	v_pk_fma_f16 v27, 0x3b15bbc4, v32, v37 op_sel_hi:[1,0,1] neg_lo:[0,0,1] neg_hi:[0,0,1]
	v_pk_add_f16 v11, v11, v20
	v_pk_fma_f16 v20, 0x2fb7b5ac, v32, v23 op_sel_hi:[1,0,1] neg_lo:[0,0,1] neg_hi:[0,0,1]
	v_pk_fma_f16 v33, 0x388bb9fd, v32, v9 op_sel_hi:[1,0,1]
	v_pk_add_f16 v10, v10, v21
	v_pk_fma_f16 v9, 0x388bb9fd, v32, v9 op_sel_hi:[1,0,1] neg_lo:[0,0,1] neg_hi:[0,0,1]
	v_pk_add_f16 v1, v1, v19
	v_pk_fma_f16 v21, 0x2fb7b5ac, v32, v23 op_sel_hi:[1,0,1]
	v_pk_add_f16 v22, v27, v4
	v_pk_add_f16 v4, v20, v11
	;; [unrolled: 1-line block ×5, first 2 shown]
	v_mad_u32_u24 v1, v0, 24, v8
	v_alignbit_b32 v21, v4, v4, 16
	v_alignbit_b32 v4, v9, v9, 16
	;; [unrolled: 1-line block ×3, first 2 shown]
	ds_write_b16 v1, v26
	ds_write_b128 v1, v[18:21] offset:2
	ds_write_b64 v1, v[4:5] offset:18
.LBB0_15:
	s_or_b32 exec_lo, exec_lo, s1
	v_and_b32_e32 v1, 0xff, v0
	v_add_nc_u32_e32 v9, 0xd0, v0
	v_mov_b32_e32 v4, 0x4ec5
	v_add_nc_u32_e32 v10, 0x1a0, v0
	v_add_nc_u32_e32 v11, 0x270, v0
	v_mul_lo_u16 v18, 0x4f, v1
	v_mov_b32_e32 v25, 2
	v_mul_u32_u24_sdwa v19, v9, v4 dst_sel:DWORD dst_unused:UNUSED_PAD src0_sel:WORD_0 src1_sel:DWORD
	v_mul_u32_u24_sdwa v1, v10, v4 dst_sel:DWORD dst_unused:UNUSED_PAD src0_sel:WORD_0 src1_sel:DWORD
	;; [unrolled: 1-line block ×3, first 2 shown]
	v_lshrrev_b16 v20, 10, v18
	s_waitcnt lgkmcnt(0)
	v_lshrrev_b32_e32 v21, 18, v19
	v_lshrrev_b32_e32 v22, 18, v1
	;; [unrolled: 1-line block ×3, first 2 shown]
	v_mul_lo_u16 v5, v20, 13
	s_barrier
	v_mul_lo_u16 v24, v21, 13
	v_mul_lo_u16 v26, v22, 13
	buffer_gl0_inv
	v_sub_nc_u16 v27, v0, v5
	v_mul_lo_u16 v5, v23, 13
	v_sub_nc_u16 v24, v9, v24
	v_sub_nc_u16 v26, v10, v26
	v_mov_b32_e32 v41, 52
	v_lshlrev_b32_sdwa v28, v25, v27 dst_sel:DWORD dst_unused:UNUSED_PAD src0_sel:DWORD src1_sel:BYTE_0
	v_sub_nc_u16 v29, v11, v5
	v_lshlrev_b32_sdwa v5, v25, v24 dst_sel:DWORD dst_unused:UNUSED_PAD src0_sel:DWORD src1_sel:WORD_0
	v_lshlrev_b32_sdwa v30, v25, v26 dst_sel:DWORD dst_unused:UNUSED_PAD src0_sel:DWORD src1_sel:WORD_0
	v_mul_u32_u24_e32 v22, 52, v22
	global_load_dword v28, v28, s[8:9]
	v_lshlrev_b32_sdwa v31, v25, v29 dst_sel:DWORD dst_unused:UNUSED_PAD src0_sel:DWORD src1_sel:WORD_0
	v_mul_u32_u24_e32 v21, 52, v21
	s_clause 0x2
	global_load_dword v32, v5, s[8:9]
	global_load_dword v30, v30, s[8:9]
	;; [unrolled: 1-line block ×3, first 2 shown]
	ds_read_u16 v33, v8
	ds_read_u16 v34, v8 offset:416
	ds_read_u16 v35, v8 offset:832
	;; [unrolled: 1-line block ×7, first 2 shown]
	v_mov_b32_e32 v5, 1
	v_mul_u32_u24_sdwa v20, v20, v41 dst_sel:DWORD dst_unused:UNUSED_PAD src0_sel:WORD_0 src1_sel:DWORD
	v_mul_u32_u24_e32 v23, 52, v23
	v_lshrrev_b16 v42, 11, v18
	v_lshrrev_b32_e32 v43, 19, v19
	v_lshlrev_b32_sdwa v26, v5, v26 dst_sel:DWORD dst_unused:UNUSED_PAD src0_sel:DWORD src1_sel:WORD_0
	v_lshlrev_b32_sdwa v24, v5, v24 dst_sel:DWORD dst_unused:UNUSED_PAD src0_sel:DWORD src1_sel:WORD_0
	v_lshlrev_b32_sdwa v27, v5, v27 dst_sel:DWORD dst_unused:UNUSED_PAD src0_sel:DWORD src1_sel:BYTE_0
	v_lshlrev_b32_sdwa v29, v5, v29 dst_sel:DWORD dst_unused:UNUSED_PAD src0_sel:DWORD src1_sel:WORD_0
	v_lshrrev_b32_e32 v44, 19, v1
	v_add3_u32 v22, 0, v22, v26
	v_add3_u32 v21, 0, v21, v24
	;; [unrolled: 1-line block ×4, first 2 shown]
	v_lshrrev_b32_e32 v45, 19, v4
	v_mul_lo_u16 v41, v42, 26
	v_mul_lo_u16 v46, v43, 26
	;; [unrolled: 1-line block ×3, first 2 shown]
	s_waitcnt vmcnt(0) lgkmcnt(0)
	v_mul_lo_u16 v48, v45, 26
	v_sub_nc_u16 v41, v0, v41
	v_sub_nc_u16 v46, v9, v46
	;; [unrolled: 1-line block ×3, first 2 shown]
	s_barrier
	v_sub_nc_u16 v48, v11, v48
	v_lshlrev_b32_sdwa v49, v25, v41 dst_sel:DWORD dst_unused:UNUSED_PAD src0_sel:DWORD src1_sel:BYTE_0
	v_lshlrev_b32_sdwa v50, v25, v46 dst_sel:DWORD dst_unused:UNUSED_PAD src0_sel:DWORD src1_sel:WORD_0
	v_lshlrev_b32_sdwa v51, v25, v47 dst_sel:DWORD dst_unused:UNUSED_PAD src0_sel:DWORD src1_sel:WORD_0
	buffer_gl0_inv
	v_lshrrev_b16 v18, 12, v18
	v_lshrrev_b32_e32 v19, 20, v19
	v_lshrrev_b32_e32 v4, 22, v4
	v_mul_lo_u16 v4, 0xd0, v4
	v_mul_f16_sdwa v26, v17, v28 dst_sel:DWORD dst_unused:UNUSED_PAD src0_sel:DWORD src1_sel:WORD_1
	v_mul_f16_sdwa v24, v39, v28 dst_sel:DWORD dst_unused:UNUSED_PAD src0_sel:DWORD src1_sel:WORD_1
	;; [unrolled: 1-line block ×8, first 2 shown]
	v_fmac_f16_e32 v26, v39, v28
	v_fma_f16 v17, v17, v28, -v24
	v_fma_f16 v16, v16, v32, -v27
	v_fmac_f16_e32 v29, v36, v32
	v_fma_f16 v14, v14, v30, -v52
	v_fmac_f16_e32 v53, v37, v30
	;; [unrolled: 2-line block ×3, first 2 shown]
	v_sub_f16_e32 v24, v33, v26
	v_sub_f16_e32 v17, v6, v17
	;; [unrolled: 1-line block ×8, first 2 shown]
	v_fma_f16 v29, v33, 2.0, -v24
	v_fma_f16 v6, v6, 2.0, -v17
	;; [unrolled: 1-line block ×8, first 2 shown]
	ds_write_b16 v20, v17 offset:26
	ds_write_b16 v20, v6
	ds_write_b16 v21, v7
	ds_write_b16 v21, v16 offset:26
	ds_write_b16 v22, v12
	ds_write_b16 v22, v14 offset:26
	;; [unrolled: 2-line block ×3, first 2 shown]
	s_waitcnt lgkmcnt(0)
	s_barrier
	buffer_gl0_inv
	ds_read_u16 v6, v8
	ds_read_u16 v7, v8 offset:416
	ds_read_u16 v12, v8 offset:832
	;; [unrolled: 1-line block ×7, first 2 shown]
	s_waitcnt lgkmcnt(0)
	s_barrier
	buffer_gl0_inv
	ds_write_b16 v20, v29
	ds_write_b16 v20, v24 offset:26
	ds_write_b16 v21, v30
	ds_write_b16 v21, v26 offset:26
	ds_write_b16 v22, v31
	ds_write_b16 v22, v27 offset:26
	ds_write_b16 v23, v32
	ds_write_b16 v23, v28 offset:26
	s_waitcnt lgkmcnt(0)
	s_barrier
	buffer_gl0_inv
	global_load_dword v20, v49, s[8:9] offset:52
	v_lshlrev_b32_sdwa v21, v25, v48 dst_sel:DWORD dst_unused:UNUSED_PAD src0_sel:DWORD src1_sel:WORD_0
	s_clause 0x2
	global_load_dword v22, v50, s[8:9] offset:52
	global_load_dword v23, v51, s[8:9] offset:52
	;; [unrolled: 1-line block ×3, first 2 shown]
	v_mul_lo_u16 v26, v18, 52
	ds_read_u16 v33, v8 offset:1664
	ds_read_u16 v35, v8 offset:2080
	;; [unrolled: 1-line block ×4, first 2 shown]
	v_mov_b32_e32 v24, 0x68
	v_mov_b32_e32 v25, 3
	v_sub_nc_u16 v26, v0, v26
	v_mul_u32_u24_e32 v28, 0x68, v43
	v_mul_u32_u24_e32 v29, 0x68, v44
	v_mul_u32_u24_sdwa v24, v42, v24 dst_sel:DWORD dst_unused:UNUSED_PAD src0_sel:WORD_0 src1_sel:DWORD
	v_mul_u32_u24_e32 v30, 0x68, v45
	v_lshlrev_b32_sdwa v31, v5, v41 dst_sel:DWORD dst_unused:UNUSED_PAD src0_sel:DWORD src1_sel:BYTE_0
	v_lshlrev_b32_sdwa v32, v5, v46 dst_sel:DWORD dst_unused:UNUSED_PAD src0_sel:DWORD src1_sel:WORD_0
	v_lshlrev_b32_sdwa v34, v5, v47 dst_sel:DWORD dst_unused:UNUSED_PAD src0_sel:DWORD src1_sel:WORD_0
	;; [unrolled: 1-line block ×3, first 2 shown]
	v_mul_u32_u24_sdwa v38, v26, v25 dst_sel:DWORD dst_unused:UNUSED_PAD src0_sel:BYTE_0 src1_sel:DWORD
	v_add3_u32 v24, 0, v24, v31
	v_add3_u32 v28, 0, v28, v32
	;; [unrolled: 1-line block ×4, first 2 shown]
	v_lshlrev_b32_e32 v31, 2, v38
	ds_read_u16 v32, v8
	ds_read_u16 v34, v8 offset:416
	ds_read_u16 v36, v8 offset:832
	;; [unrolled: 1-line block ×3, first 2 shown]
	v_mul_lo_u16 v27, v19, 52
	s_waitcnt vmcnt(0) lgkmcnt(0)
	s_barrier
	buffer_gl0_inv
	v_sub_nc_u16 v27, v9, v27
	v_mul_u32_u24_sdwa v25, v27, v25 dst_sel:DWORD dst_unused:UNUSED_PAD src0_sel:WORD_0 src1_sel:DWORD
	v_mul_f16_sdwa v40, v33, v20 dst_sel:DWORD dst_unused:UNUSED_PAD src0_sel:DWORD src1_sel:WORD_1
	v_mul_f16_sdwa v41, v16, v20 dst_sel:DWORD dst_unused:UNUSED_PAD src0_sel:DWORD src1_sel:WORD_1
	;; [unrolled: 1-line block ×7, first 2 shown]
	v_fma_f16 v16, v16, v20, -v40
	v_mul_f16_sdwa v47, v15, v21 dst_sel:DWORD dst_unused:UNUSED_PAD src0_sel:DWORD src1_sel:WORD_1
	v_fmac_f16_e32 v41, v33, v20
	v_fma_f16 v13, v13, v22, -v42
	v_fmac_f16_e32 v43, v35, v22
	v_fma_f16 v14, v14, v23, -v44
	v_fma_f16 v15, v15, v21, -v46
	v_fmac_f16_e32 v45, v37, v23
	v_sub_f16_e32 v16, v6, v16
	v_fmac_f16_e32 v47, v39, v21
	v_sub_f16_e32 v20, v32, v41
	v_sub_f16_e32 v13, v7, v13
	;; [unrolled: 1-line block ×6, first 2 shown]
	v_fma_f16 v6, v6, 2.0, -v16
	v_sub_f16_e32 v23, v38, v47
	v_fma_f16 v32, v32, 2.0, -v20
	v_fma_f16 v7, v7, 2.0, -v13
	;; [unrolled: 1-line block ×5, first 2 shown]
	ds_write_b16 v24, v16 offset:52
	ds_write_b16 v24, v6
	ds_write_b16 v28, v7
	ds_write_b16 v28, v13 offset:52
	ds_write_b16 v29, v12
	ds_write_b16 v29, v14 offset:52
	;; [unrolled: 2-line block ×3, first 2 shown]
	v_lshlrev_b32_e32 v6, 2, v25
	v_fma_f16 v34, v36, 2.0, -v22
	v_fma_f16 v35, v38, 2.0, -v23
	s_waitcnt lgkmcnt(0)
	s_barrier
	buffer_gl0_inv
	ds_read_u16 v36, v8
	ds_read_u16 v37, v8 offset:2912
	ds_read_u16 v38, v8 offset:2496
	;; [unrolled: 1-line block ×7, first 2 shown]
	s_waitcnt lgkmcnt(0)
	s_barrier
	buffer_gl0_inv
	ds_write_b16 v24, v32
	ds_write_b16 v24, v20 offset:52
	ds_write_b16 v28, v33
	ds_write_b16 v28, v21 offset:52
	;; [unrolled: 2-line block ×4, first 2 shown]
	s_waitcnt lgkmcnt(0)
	s_barrier
	buffer_gl0_inv
	s_clause 0x1
	global_load_dwordx3 v[12:14], v31, s[8:9] offset:156
	global_load_dwordx3 v[15:17], v6, s[8:9] offset:156
	v_lshrrev_b32_e32 v6, 22, v1
	v_mov_b32_e32 v1, 0
	v_mov_b32_e32 v20, 0x1a0
	ds_read_u16 v23, v8 offset:832
	v_lshlrev_b32_sdwa v22, v5, v27 dst_sel:DWORD dst_unused:UNUSED_PAD src0_sel:DWORD src1_sel:WORD_0
	v_mul_lo_u16 v21, 0xd0, v6
	v_lshlrev_b64 v[6:7], 2, v[0:1]
	v_mul_u32_u24_sdwa v1, v18, v20 dst_sel:DWORD dst_unused:UNUSED_PAD src0_sel:WORD_0 src1_sel:DWORD
	v_mul_u32_u24_e32 v18, 0x1a0, v19
	v_sub_nc_u16 v20, v11, v4
	v_sub_nc_u16 v19, v10, v21
	v_lshlrev_b32_sdwa v21, v5, v26 dst_sel:DWORD dst_unused:UNUSED_PAD src0_sel:DWORD src1_sel:BYTE_0
	ds_read_u16 v24, v8 offset:1664
	ds_read_u16 v25, v8 offset:2912
	;; [unrolled: 1-line block ×5, first 2 shown]
	v_add_co_u32 v4, s0, s8, v6
	v_add3_u32 v6, 0, v18, v22
	v_add3_u32 v1, 0, v1, v21
	ds_read_u16 v18, v8
	ds_read_u16 v21, v8 offset:416
	v_and_b32_e32 v19, 0xffff, v19
	v_add_co_ci_u32_e64 v5, s0, s9, v7, s0
	v_and_b32_e32 v20, 0xffff, v20
	s_waitcnt vmcnt(0) lgkmcnt(0)
	s_barrier
	buffer_gl0_inv
	v_lshlrev_b32_e32 v7, 2, v19
	v_lshl_add_u32 v19, v19, 1, 0
	v_mul_f16_sdwa v29, v42, v12 dst_sel:DWORD dst_unused:UNUSED_PAD src0_sel:DWORD src1_sel:WORD_1
	v_mul_f16_sdwa v31, v40, v13 dst_sel:DWORD dst_unused:UNUSED_PAD src0_sel:DWORD src1_sel:WORD_1
	;; [unrolled: 1-line block ×12, first 2 shown]
	v_fmac_f16_e32 v29, v23, v12
	v_fmac_f16_e32 v31, v24, v13
	;; [unrolled: 1-line block ×3, first 2 shown]
	v_fma_f16 v22, v42, v12, -v22
	v_fma_f16 v12, v40, v13, -v30
	;; [unrolled: 1-line block ×4, first 2 shown]
	v_fmac_f16_e32 v35, v28, v15
	v_fma_f16 v15, v39, v16, -v44
	v_fmac_f16_e32 v45, v27, v16
	v_fma_f16 v16, v37, v17, -v46
	v_fmac_f16_e32 v47, v25, v17
	v_sub_f16_e32 v17, v18, v31
	v_sub_f16_e32 v23, v29, v33
	;; [unrolled: 1-line block ×8, first 2 shown]
	v_fma_f16 v18, v18, 2.0, -v17
	v_fma_f16 v27, v29, 2.0, -v23
	v_fma_f16 v26, v36, 2.0, -v12
	v_fma_f16 v22, v22, 2.0, -v13
	v_fma_f16 v28, v43, 2.0, -v15
	v_fma_f16 v14, v14, 2.0, -v16
	v_fma_f16 v21, v21, 2.0, -v24
	v_fma_f16 v29, v35, 2.0, -v25
	v_sub_f16_e32 v23, v12, v23
	v_sub_f16_e32 v27, v18, v27
	v_add_f16_e32 v13, v17, v13
	v_sub_f16_e32 v22, v26, v22
	v_sub_f16_e32 v14, v28, v14
	;; [unrolled: 1-line block ×4, first 2 shown]
	v_add_f16_e32 v16, v24, v16
	v_fma_f16 v12, v12, 2.0, -v23
	v_fma_f16 v18, v18, 2.0, -v27
	;; [unrolled: 1-line block ×3, first 2 shown]
	ds_write_b16 v1, v23 offset:312
	v_fma_f16 v23, v26, 2.0, -v22
	v_fma_f16 v26, v28, 2.0, -v14
	;; [unrolled: 1-line block ×5, first 2 shown]
	ds_write_b16 v1, v12 offset:104
	ds_write_b16 v1, v22 offset:208
	ds_write_b16 v1, v23
	ds_write_b16 v6, v26
	ds_write_b16 v6, v15 offset:104
	ds_write_b16 v6, v14 offset:208
	;; [unrolled: 1-line block ×3, first 2 shown]
	s_waitcnt lgkmcnt(0)
	s_barrier
	buffer_gl0_inv
	ds_read_u16 v12, v8
	ds_read_u16 v14, v8 offset:416
	ds_read_u16 v15, v8 offset:832
	;; [unrolled: 1-line block ×7, first 2 shown]
	s_waitcnt lgkmcnt(0)
	s_barrier
	buffer_gl0_inv
	ds_write_b16 v1, v18
	ds_write_b16 v1, v17 offset:104
	ds_write_b16 v1, v27 offset:208
	;; [unrolled: 1-line block ×3, first 2 shown]
	ds_write_b16 v6, v21
	ds_write_b16 v6, v24 offset:104
	ds_write_b16 v6, v29 offset:208
	ds_write_b16 v6, v16 offset:312
	s_waitcnt lgkmcnt(0)
	s_barrier
	buffer_gl0_inv
	global_load_dword v1, v[4:5], off offset:780
	v_lshlrev_b32_e32 v6, 2, v20
	s_clause 0x1
	global_load_dword v13, v7, s[8:9] offset:780
	global_load_dword v16, v6, s[8:9] offset:780
	ds_read_u16 v17, v8 offset:1664
	ds_read_u16 v18, v8 offset:2080
	ds_read_u16 v21, v8 offset:2496
	ds_read_u16 v24, v8 offset:2912
	ds_read_u16 v27, v8
	ds_read_u16 v29, v8 offset:416
	ds_read_u16 v30, v8 offset:832
	;; [unrolled: 1-line block ×3, first 2 shown]
	v_add_co_u32 v6, s0, 0x340, v4
	v_add_co_ci_u32_e64 v7, s0, 0, v5, s0
	v_lshl_add_u32 v20, v20, 1, 0
	s_waitcnt vmcnt(0) lgkmcnt(0)
	s_barrier
	buffer_gl0_inv
	v_mul_f16_sdwa v33, v26, v1 dst_sel:DWORD dst_unused:UNUSED_PAD src0_sel:DWORD src1_sel:WORD_1
	v_mul_f16_sdwa v35, v22, v1 dst_sel:DWORD dst_unused:UNUSED_PAD src0_sel:DWORD src1_sel:WORD_1
	;; [unrolled: 1-line block ×8, first 2 shown]
	v_fmac_f16_e32 v33, v17, v1
	v_fmac_f16_e32 v35, v18, v1
	v_fma_f16 v26, v26, v1, -v32
	v_fma_f16 v17, v22, v1, -v34
	;; [unrolled: 1-line block ×3, first 2 shown]
	v_fmac_f16_e32 v37, v21, v13
	v_fma_f16 v13, v25, v16, -v38
	v_fmac_f16_e32 v39, v24, v16
	v_sub_f16_e32 v18, v27, v33
	v_sub_f16_e32 v21, v29, v35
	;; [unrolled: 1-line block ×8, first 2 shown]
	v_fma_f16 v24, v27, 2.0, -v18
	v_fma_f16 v25, v29, 2.0, -v21
	v_fma_f16 v12, v12, 2.0, -v16
	v_fma_f16 v14, v14, 2.0, -v17
	v_fma_f16 v15, v15, 2.0, -v1
	v_fma_f16 v26, v30, 2.0, -v22
	v_fma_f16 v27, v28, 2.0, -v13
	v_fma_f16 v28, v31, 2.0, -v23
	ds_write_b16 v8, v16 offset:416
	ds_write_b16 v8, v17 offset:1248
	;; [unrolled: 1-line block ×4, first 2 shown]
	ds_write_b16 v8, v12
	ds_write_b16 v8, v14 offset:832
	ds_write_b16 v19, v15 offset:1664
	;; [unrolled: 1-line block ×3, first 2 shown]
	s_waitcnt lgkmcnt(0)
	s_barrier
	buffer_gl0_inv
	ds_read_u16 v1, v8
	ds_read_u16 v12, v8 offset:416
	ds_read_u16 v13, v8 offset:832
	;; [unrolled: 1-line block ×7, first 2 shown]
	s_waitcnt lgkmcnt(0)
	s_barrier
	buffer_gl0_inv
	ds_write_b16 v8, v24
	ds_write_b16 v8, v18 offset:416
	ds_write_b16 v8, v25 offset:832
	;; [unrolled: 1-line block ×7, first 2 shown]
	s_waitcnt lgkmcnt(0)
	s_barrier
	buffer_gl0_inv
	s_clause 0x1
	global_load_dword v18, v[4:5], off offset:1612
	global_load_dword v19, v[6:7], off offset:1612
	ds_read_u16 v20, v8 offset:1664
	ds_read_u16 v21, v8 offset:2080
	;; [unrolled: 1-line block ×4, first 2 shown]
	ds_read_u16 v24, v8
	ds_read_u16 v25, v8 offset:416
	ds_read_u16 v26, v8 offset:832
	;; [unrolled: 1-line block ×3, first 2 shown]
	s_waitcnt vmcnt(0) lgkmcnt(0)
	s_barrier
	buffer_gl0_inv
	v_mul_f16_sdwa v29, v20, v18 dst_sel:DWORD dst_unused:UNUSED_PAD src0_sel:DWORD src1_sel:WORD_1
	v_mul_f16_sdwa v31, v21, v19 dst_sel:DWORD dst_unused:UNUSED_PAD src0_sel:DWORD src1_sel:WORD_1
	;; [unrolled: 1-line block ×8, first 2 shown]
	v_fma_f16 v17, v17, v18, -v29
	v_fma_f16 v14, v14, v19, -v31
	;; [unrolled: 1-line block ×4, first 2 shown]
	v_fmac_f16_e32 v30, v20, v18
	v_sub_f16_e32 v17, v1, v17
	v_sub_f16_e32 v14, v12, v14
	;; [unrolled: 1-line block ×4, first 2 shown]
	v_fmac_f16_e32 v34, v22, v18
	v_fma_f16 v1, v1, 2.0, -v17
	v_fma_f16 v12, v12, 2.0, -v14
	v_fma_f16 v13, v13, 2.0, -v15
	v_fma_f16 v18, v27, 2.0, -v16
	ds_write_b16 v8, v17 offset:832
	ds_write_b16 v8, v14 offset:1248
	;; [unrolled: 1-line block ×4, first 2 shown]
	ds_write_b16 v8, v1
	ds_write_b16 v8, v12 offset:416
	ds_write_b16 v8, v13 offset:1664
	;; [unrolled: 1-line block ×3, first 2 shown]
	s_waitcnt lgkmcnt(0)
	s_barrier
	buffer_gl0_inv
	ds_read_u16 v1, v8
	ds_read_u16 v12, v8 offset:416
	ds_read_u16 v13, v8 offset:832
	;; [unrolled: 1-line block ×7, first 2 shown]
	v_fmac_f16_e32 v32, v21, v19
	v_fmac_f16_e32 v36, v23, v19
	v_sub_f16_e32 v19, v24, v30
	v_sub_f16_e32 v21, v26, v34
	s_waitcnt lgkmcnt(0)
	v_sub_f16_e32 v20, v25, v32
	v_sub_f16_e32 v22, v28, v36
	v_fma_f16 v23, v24, 2.0, -v19
	s_barrier
	buffer_gl0_inv
	v_fma_f16 v24, v25, 2.0, -v20
	v_fma_f16 v25, v26, 2.0, -v21
	;; [unrolled: 1-line block ×3, first 2 shown]
	ds_write_b16 v8, v23
	ds_write_b16 v8, v19 offset:832
	ds_write_b16 v8, v24 offset:416
	;; [unrolled: 1-line block ×7, first 2 shown]
	s_waitcnt lgkmcnt(0)
	s_barrier
	buffer_gl0_inv
	s_and_saveexec_b32 s0, vcc_lo
	s_cbranch_execz .LBB0_17
; %bb.16:
	v_add_co_u32 v19, vcc_lo, 0x1000, v4
	v_add_co_ci_u32_e32 v20, vcc_lo, 0, v5, vcc_lo
	v_add_co_u32 v6, vcc_lo, 0x800, v6
	v_add_co_ci_u32_e32 v7, vcc_lo, 0, v7, vcc_lo
	;; [unrolled: 2-line block ×3, first 2 shown]
	s_clause 0x3
	global_load_dword v32, v[19:20], off offset:1676
	global_load_dword v33, v[6:7], off offset:1228
	;; [unrolled: 1-line block ×4, first 2 shown]
	v_add_nc_u32_e32 v23, 0x340, v0
	v_add_nc_u32_e32 v24, 0x410, v0
	ds_read_u16 v36, v8 offset:2912
	ds_read_u16 v37, v8 offset:2496
	;; [unrolled: 1-line block ×7, first 2 shown]
	ds_read_u16 v43, v8
	v_mul_hi_u32 v8, 0x4ec4ec4f, v10
	v_mul_hi_u32 v21, 0x4ec4ec4f, v11
	v_add_co_u32 v44, vcc_lo, s12, v2
	v_mad_u64_u32 v[4:5], null, s2, v0, 0
	v_mad_u64_u32 v[6:7], null, s2, v23, 0
	v_add_co_ci_u32_e32 v45, vcc_lo, s13, v3, vcc_lo
	v_mad_u64_u32 v[2:3], null, s2, v9, 0
	v_mad_u64_u32 v[19:20], null, s2, v24, 0
	v_lshrrev_b32_e32 v25, 8, v8
	v_lshrrev_b32_e32 v26, 8, v21
	v_mad_u64_u32 v[21:22], null, s3, v0, v[5:6]
	v_mov_b32_e32 v0, v7
	v_mad_u64_u32 v[7:8], null, s3, v9, v[3:4]
	v_mov_b32_e32 v3, v20
	v_mad_u32_u24 v28, 0x340, v25, v10
	v_mad_u32_u24 v30, 0x340, v26, v11
	v_mad_u64_u32 v[8:9], null, s3, v23, v[0:1]
	v_mad_u64_u32 v[9:10], null, s3, v24, v[3:4]
	;; [unrolled: 1-line block ×3, first 2 shown]
	v_add_nc_u32_e32 v31, 0x340, v28
	v_mad_u64_u32 v[22:23], null, s2, v30, 0
	v_add_nc_u32_e32 v46, 0x340, v30
	v_mov_b32_e32 v3, v7
	v_mad_u64_u32 v[24:25], null, s2, v31, 0
	v_mov_b32_e32 v7, v8
	v_mad_u64_u32 v[26:27], null, s2, v46, 0
	v_mov_b32_e32 v0, v11
	v_mov_b32_e32 v8, v23
	;; [unrolled: 1-line block ×4, first 2 shown]
	v_lshlrev_b64 v[2:3], 2, v[2:3]
	v_mad_u64_u32 v[28:29], null, s3, v28, v[0:1]
	v_mov_b32_e32 v0, v25
	v_mad_u64_u32 v[8:9], null, s3, v30, v[8:9]
	v_mov_b32_e32 v9, v27
	v_lshlrev_b64 v[4:5], 2, v[4:5]
	v_mad_u64_u32 v[29:30], null, s3, v31, v[0:1]
	v_lshlrev_b64 v[6:7], 2, v[6:7]
	v_mad_u64_u32 v[30:31], null, s3, v46, v[9:10]
	v_add_co_u32 v4, vcc_lo, v44, v4
	v_add_co_ci_u32_e32 v5, vcc_lo, v45, v5, vcc_lo
	v_lshlrev_b64 v[19:20], 2, v[19:20]
	v_add_co_u32 v2, vcc_lo, v44, v2
	v_mov_b32_e32 v11, v28
	v_add_co_ci_u32_e32 v3, vcc_lo, v45, v3, vcc_lo
	v_add_co_u32 v6, vcc_lo, v44, v6
	v_mov_b32_e32 v23, v8
	v_mov_b32_e32 v25, v29
	;; [unrolled: 1-line block ×3, first 2 shown]
	v_add_co_ci_u32_e32 v7, vcc_lo, v45, v7, vcc_lo
	v_lshlrev_b64 v[8:9], 2, v[10:11]
	v_add_co_u32 v10, vcc_lo, v44, v19
	v_add_co_ci_u32_e32 v11, vcc_lo, v45, v20, vcc_lo
	v_lshlrev_b64 v[19:20], 2, v[22:23]
	v_lshlrev_b64 v[21:22], 2, v[24:25]
	;; [unrolled: 1-line block ×3, first 2 shown]
	v_add_co_u32 v8, vcc_lo, v44, v8
	v_add_co_ci_u32_e32 v9, vcc_lo, v45, v9, vcc_lo
	v_add_co_u32 v19, vcc_lo, v44, v19
	v_add_co_ci_u32_e32 v20, vcc_lo, v45, v20, vcc_lo
	;; [unrolled: 2-line block ×4, first 2 shown]
	s_waitcnt vmcnt(3)
	v_mul_f16_sdwa v25, v18, v32 dst_sel:DWORD dst_unused:UNUSED_PAD src0_sel:DWORD src1_sel:WORD_1
	s_waitcnt vmcnt(2) lgkmcnt(5)
	v_mul_f16_sdwa v28, v38, v33 dst_sel:DWORD dst_unused:UNUSED_PAD src0_sel:DWORD src1_sel:WORD_1
	s_waitcnt vmcnt(1) lgkmcnt(4)
	v_mul_f16_sdwa v30, v39, v34 dst_sel:DWORD dst_unused:UNUSED_PAD src0_sel:DWORD src1_sel:WORD_1
	s_waitcnt vmcnt(0)
	v_mul_f16_sdwa v27, v17, v35 dst_sel:DWORD dst_unused:UNUSED_PAD src0_sel:DWORD src1_sel:WORD_1
	v_mul_f16_sdwa v31, v16, v34 dst_sel:DWORD dst_unused:UNUSED_PAD src0_sel:DWORD src1_sel:WORD_1
	;; [unrolled: 1-line block ×5, first 2 shown]
	v_fmac_f16_e32 v25, v32, v36
	v_fmac_f16_e32 v27, v35, v37
	v_fma_f16 v16, v16, v34, -v30
	v_fmac_f16_e32 v31, v34, v39
	v_fma_f16 v15, v15, v33, -v28
	;; [unrolled: 2-line block ×3, first 2 shown]
	v_fma_f16 v0, v18, v32, -v0
	s_waitcnt lgkmcnt(3)
	v_sub_f16_e32 v18, v40, v25
	s_waitcnt lgkmcnt(2)
	v_sub_f16_e32 v25, v41, v27
	v_sub_f16_e32 v16, v1, v16
	s_waitcnt lgkmcnt(0)
	v_sub_f16_e32 v27, v43, v31
	v_sub_f16_e32 v15, v12, v15
	;; [unrolled: 1-line block ×5, first 2 shown]
	v_fma_f16 v1, v1, 2.0, -v16
	v_fma_f16 v30, v43, 2.0, -v27
	;; [unrolled: 1-line block ×8, first 2 shown]
	v_pack_b32_f16 v1, v1, v30
	v_pack_b32_f16 v16, v16, v27
	;; [unrolled: 1-line block ×8, first 2 shown]
	global_store_dword v[4:5], v1, off
	global_store_dword v[6:7], v16, off
	global_store_dword v[2:3], v12, off
	global_store_dword v[10:11], v15, off
	global_store_dword v[8:9], v13, off
	global_store_dword v[21:22], v17, off
	global_store_dword v[19:20], v14, off
	global_store_dword v[23:24], v0, off
.LBB0_17:
	s_endpgm
	.section	.rodata,"a",@progbits
	.p2align	6, 0x0
	.amdhsa_kernel fft_rtc_fwd_len1664_factors_13_2_2_4_2_2_2_wgs_208_tpt_208_halfLds_half_ip_CI_sbrr_dirReg
		.amdhsa_group_segment_fixed_size 0
		.amdhsa_private_segment_fixed_size 0
		.amdhsa_kernarg_size 88
		.amdhsa_user_sgpr_count 6
		.amdhsa_user_sgpr_private_segment_buffer 1
		.amdhsa_user_sgpr_dispatch_ptr 0
		.amdhsa_user_sgpr_queue_ptr 0
		.amdhsa_user_sgpr_kernarg_segment_ptr 1
		.amdhsa_user_sgpr_dispatch_id 0
		.amdhsa_user_sgpr_flat_scratch_init 0
		.amdhsa_user_sgpr_private_segment_size 0
		.amdhsa_wavefront_size32 1
		.amdhsa_uses_dynamic_stack 0
		.amdhsa_system_sgpr_private_segment_wavefront_offset 0
		.amdhsa_system_sgpr_workgroup_id_x 1
		.amdhsa_system_sgpr_workgroup_id_y 0
		.amdhsa_system_sgpr_workgroup_id_z 0
		.amdhsa_system_sgpr_workgroup_info 0
		.amdhsa_system_vgpr_workitem_id 0
		.amdhsa_next_free_vgpr 61
		.amdhsa_next_free_sgpr 23
		.amdhsa_reserve_vcc 1
		.amdhsa_reserve_flat_scratch 0
		.amdhsa_float_round_mode_32 0
		.amdhsa_float_round_mode_16_64 0
		.amdhsa_float_denorm_mode_32 3
		.amdhsa_float_denorm_mode_16_64 3
		.amdhsa_dx10_clamp 1
		.amdhsa_ieee_mode 1
		.amdhsa_fp16_overflow 0
		.amdhsa_workgroup_processor_mode 1
		.amdhsa_memory_ordered 1
		.amdhsa_forward_progress 0
		.amdhsa_shared_vgpr_count 0
		.amdhsa_exception_fp_ieee_invalid_op 0
		.amdhsa_exception_fp_denorm_src 0
		.amdhsa_exception_fp_ieee_div_zero 0
		.amdhsa_exception_fp_ieee_overflow 0
		.amdhsa_exception_fp_ieee_underflow 0
		.amdhsa_exception_fp_ieee_inexact 0
		.amdhsa_exception_int_div_zero 0
	.end_amdhsa_kernel
	.text
.Lfunc_end0:
	.size	fft_rtc_fwd_len1664_factors_13_2_2_4_2_2_2_wgs_208_tpt_208_halfLds_half_ip_CI_sbrr_dirReg, .Lfunc_end0-fft_rtc_fwd_len1664_factors_13_2_2_4_2_2_2_wgs_208_tpt_208_halfLds_half_ip_CI_sbrr_dirReg
                                        ; -- End function
	.section	.AMDGPU.csdata,"",@progbits
; Kernel info:
; codeLenInByte = 9120
; NumSgprs: 25
; NumVgprs: 61
; ScratchSize: 0
; MemoryBound: 0
; FloatMode: 240
; IeeeMode: 1
; LDSByteSize: 0 bytes/workgroup (compile time only)
; SGPRBlocks: 3
; VGPRBlocks: 7
; NumSGPRsForWavesPerEU: 25
; NumVGPRsForWavesPerEU: 61
; Occupancy: 16
; WaveLimiterHint : 1
; COMPUTE_PGM_RSRC2:SCRATCH_EN: 0
; COMPUTE_PGM_RSRC2:USER_SGPR: 6
; COMPUTE_PGM_RSRC2:TRAP_HANDLER: 0
; COMPUTE_PGM_RSRC2:TGID_X_EN: 1
; COMPUTE_PGM_RSRC2:TGID_Y_EN: 0
; COMPUTE_PGM_RSRC2:TGID_Z_EN: 0
; COMPUTE_PGM_RSRC2:TIDIG_COMP_CNT: 0
	.text
	.p2alignl 6, 3214868480
	.fill 48, 4, 3214868480
	.type	__hip_cuid_615610632ff1c182,@object ; @__hip_cuid_615610632ff1c182
	.section	.bss,"aw",@nobits
	.globl	__hip_cuid_615610632ff1c182
__hip_cuid_615610632ff1c182:
	.byte	0                               ; 0x0
	.size	__hip_cuid_615610632ff1c182, 1

	.ident	"AMD clang version 19.0.0git (https://github.com/RadeonOpenCompute/llvm-project roc-6.4.0 25133 c7fe45cf4b819c5991fe208aaa96edf142730f1d)"
	.section	".note.GNU-stack","",@progbits
	.addrsig
	.addrsig_sym __hip_cuid_615610632ff1c182
	.amdgpu_metadata
---
amdhsa.kernels:
  - .args:
      - .actual_access:  read_only
        .address_space:  global
        .offset:         0
        .size:           8
        .value_kind:     global_buffer
      - .offset:         8
        .size:           8
        .value_kind:     by_value
      - .actual_access:  read_only
        .address_space:  global
        .offset:         16
        .size:           8
        .value_kind:     global_buffer
      - .actual_access:  read_only
        .address_space:  global
        .offset:         24
        .size:           8
        .value_kind:     global_buffer
      - .offset:         32
        .size:           8
        .value_kind:     by_value
      - .actual_access:  read_only
        .address_space:  global
        .offset:         40
        .size:           8
        .value_kind:     global_buffer
      - .actual_access:  read_only
        .address_space:  global
        .offset:         48
        .size:           8
        .value_kind:     global_buffer
      - .offset:         56
        .size:           4
        .value_kind:     by_value
      - .actual_access:  read_only
        .address_space:  global
        .offset:         64
        .size:           8
        .value_kind:     global_buffer
      - .actual_access:  read_only
        .address_space:  global
        .offset:         72
        .size:           8
        .value_kind:     global_buffer
      - .address_space:  global
        .offset:         80
        .size:           8
        .value_kind:     global_buffer
    .group_segment_fixed_size: 0
    .kernarg_segment_align: 8
    .kernarg_segment_size: 88
    .language:       OpenCL C
    .language_version:
      - 2
      - 0
    .max_flat_workgroup_size: 208
    .name:           fft_rtc_fwd_len1664_factors_13_2_2_4_2_2_2_wgs_208_tpt_208_halfLds_half_ip_CI_sbrr_dirReg
    .private_segment_fixed_size: 0
    .sgpr_count:     25
    .sgpr_spill_count: 0
    .symbol:         fft_rtc_fwd_len1664_factors_13_2_2_4_2_2_2_wgs_208_tpt_208_halfLds_half_ip_CI_sbrr_dirReg.kd
    .uniform_work_group_size: 1
    .uses_dynamic_stack: false
    .vgpr_count:     61
    .vgpr_spill_count: 0
    .wavefront_size: 32
    .workgroup_processor_mode: 1
amdhsa.target:   amdgcn-amd-amdhsa--gfx1030
amdhsa.version:
  - 1
  - 2
...

	.end_amdgpu_metadata
